;; amdgpu-corpus repo=ROCm/rocFFT kind=compiled arch=gfx906 opt=O3
	.text
	.amdgcn_target "amdgcn-amd-amdhsa--gfx906"
	.amdhsa_code_object_version 6
	.protected	bluestein_single_fwd_len32_dim1_dp_op_CI_CI ; -- Begin function bluestein_single_fwd_len32_dim1_dp_op_CI_CI
	.globl	bluestein_single_fwd_len32_dim1_dp_op_CI_CI
	.p2align	8
	.type	bluestein_single_fwd_len32_dim1_dp_op_CI_CI,@function
bluestein_single_fwd_len32_dim1_dp_op_CI_CI: ; @bluestein_single_fwd_len32_dim1_dp_op_CI_CI
; %bb.0:
	s_load_dwordx4 s[0:3], s[4:5], 0x28
	v_lshrrev_b32_e32 v1, 4, v0
	v_lshl_or_b32 v44, s6, 3, v1
	v_mov_b32_e32 v45, 0
	s_waitcnt lgkmcnt(0)
	v_cmp_gt_u64_e32 vcc, s[0:1], v[44:45]
	s_and_saveexec_b64 s[0:1], vcc
	s_cbranch_execz .LBB0_23
; %bb.1:
	s_load_dwordx2 s[12:13], s[4:5], 0x0
	s_load_dwordx2 s[6:7], s[4:5], 0x38
	v_and_b32_e32 v50, 15, v0
	v_lshlrev_b32_e32 v55, 5, v1
	v_cmp_gt_u32_e32 vcc, 4, v50
	v_lshlrev_b32_e32 v49, 4, v50
	v_or_b32_e32 v54, v55, v50
	v_or_b32_e32 v51, 4, v50
	v_add_lshl_u32 v47, v55, v50, 4
	v_or_b32_e32 v52, 8, v50
	v_or_b32_e32 v53, 12, v50
	;; [unrolled: 1-line block ×5, first 2 shown]
	s_and_saveexec_b64 s[14:15], vcc
	s_cbranch_execz .LBB0_3
; %bb.2:
	s_load_dwordx2 s[0:1], s[4:5], 0x18
	s_waitcnt lgkmcnt(0)
	s_load_dwordx4 s[8:11], s[0:1], 0x0
	s_waitcnt lgkmcnt(0)
	v_mad_u64_u32 v[0:1], s[0:1], s10, v44, 0
	v_mad_u64_u32 v[2:3], s[0:1], s8, v50, 0
	;; [unrolled: 1-line block ×4, first 2 shown]
	v_mov_b32_e32 v1, v4
	v_lshlrev_b64 v[0:1], 4, v[0:1]
	v_mov_b32_e32 v3, v5
	v_mov_b32_e32 v6, s3
	v_lshlrev_b64 v[2:3], 4, v[2:3]
	v_add_co_u32_e64 v62, s[0:1], s2, v0
	v_addc_co_u32_e64 v63, s[0:1], v6, v1, s[0:1]
	v_add_co_u32_e64 v40, s[0:1], v62, v2
	v_addc_co_u32_e64 v41, s[0:1], v63, v3, s[0:1]
	global_load_dwordx4 v[0:3], v[40:41], off
	global_load_dwordx4 v[4:7], v49, s[12:13]
	global_load_dwordx4 v[8:11], v49, s[12:13] offset:64
	global_load_dwordx4 v[12:15], v49, s[12:13] offset:128
	;; [unrolled: 1-line block ×5, first 2 shown]
	v_mad_u64_u32 v[28:29], s[0:1], s8, v51, 0
	v_mad_u64_u32 v[30:31], s[0:1], s8, v52, 0
	;; [unrolled: 1-line block ×10, first 2 shown]
	v_mov_b32_e32 v29, v42
	v_mad_u64_u32 v[59:60], s[0:1], s9, v46, v[37:38]
	v_lshlrev_b64 v[28:29], 4, v[28:29]
	v_mad_u64_u32 v[60:61], s[0:1], s9, v45, v[39:40]
	v_mov_b32_e32 v31, v56
	v_lshlrev_b64 v[30:31], 4, v[30:31]
	v_add_co_u32_e64 v28, s[0:1], v62, v28
	v_addc_co_u32_e64 v29, s[0:1], v63, v29, s[0:1]
	v_add_co_u32_e64 v56, s[0:1], v62, v30
	v_mov_b32_e32 v33, v57
	v_addc_co_u32_e64 v57, s[0:1], v63, v31, s[0:1]
	global_load_dwordx4 v[28:31], v[28:29], off
	v_lshlrev_b64 v[32:33], 4, v[32:33]
	v_mov_b32_e32 v35, v58
	v_lshlrev_b64 v[34:35], 4, v[34:35]
	v_add_co_u32_e64 v58, s[0:1], v62, v32
	v_mov_b32_e32 v37, v59
	v_addc_co_u32_e64 v59, s[0:1], v63, v33, s[0:1]
	v_mov_b32_e32 v39, v60
	v_lshlrev_b64 v[36:37], 4, v[36:37]
	v_add_co_u32_e64 v60, s[0:1], v62, v34
	v_addc_co_u32_e64 v61, s[0:1], v63, v35, s[0:1]
	v_add_co_u32_e64 v72, s[0:1], v62, v36
	v_lshlrev_b64 v[42:43], 4, v[38:39]
	v_addc_co_u32_e64 v73, s[0:1], v63, v37, s[0:1]
	global_load_dwordx4 v[32:35], v[56:57], off
	global_load_dwordx4 v[36:39], v[58:59], off
	v_add_co_u32_e64 v74, s[0:1], v62, v42
	v_addc_co_u32_e64 v75, s[0:1], v63, v43, s[0:1]
	s_lshl_b64 s[2:3], s[8:9], 8
	v_mov_b32_e32 v65, s3
	v_add_co_u32_e64 v64, s[0:1], s2, v40
	v_addc_co_u32_e64 v65, s[0:1], v41, v65, s[0:1]
	global_load_dwordx4 v[40:43], v[64:65], off
	global_load_dwordx4 v[56:59], v[60:61], off
	s_waitcnt vmcnt(10)
	v_mul_f64 v[62:63], v[2:3], v[6:7]
	v_mul_f64 v[6:7], v[0:1], v[6:7]
	v_fma_f64 v[0:1], v[0:1], v[4:5], v[62:63]
	v_fma_f64 v[2:3], v[2:3], v[4:5], -v[6:7]
	global_load_dwordx4 v[4:7], v49, s[12:13] offset:384
	global_load_dwordx4 v[60:63], v[72:73], off
	global_load_dwordx4 v[64:67], v[74:75], off
	global_load_dwordx4 v[68:71], v49, s[12:13] offset:448
	s_waitcnt vmcnt(8)
	v_mul_f64 v[72:73], v[30:31], v[10:11]
	v_mul_f64 v[10:11], v[28:29], v[10:11]
	v_fma_f64 v[28:29], v[28:29], v[8:9], v[72:73]
	v_fma_f64 v[30:31], v[30:31], v[8:9], -v[10:11]
	s_waitcnt vmcnt(7)
	v_mul_f64 v[8:9], v[34:35], v[14:15]
	v_mul_f64 v[10:11], v[32:33], v[14:15]
	s_waitcnt vmcnt(6)
	v_mul_f64 v[14:15], v[38:39], v[18:19]
	v_mul_f64 v[18:19], v[36:37], v[18:19]
	v_fma_f64 v[8:9], v[32:33], v[12:13], v[8:9]
	v_fma_f64 v[10:11], v[34:35], v[12:13], -v[10:11]
	v_fma_f64 v[12:13], v[36:37], v[16:17], v[14:15]
	v_fma_f64 v[14:15], v[38:39], v[16:17], -v[18:19]
	s_waitcnt vmcnt(5)
	v_mul_f64 v[16:17], v[42:43], v[22:23]
	v_mul_f64 v[18:19], v[40:41], v[22:23]
	s_waitcnt vmcnt(4)
	v_mul_f64 v[22:23], v[58:59], v[26:27]
	v_mul_f64 v[26:27], v[56:57], v[26:27]
	v_fma_f64 v[16:17], v[40:41], v[20:21], v[16:17]
	v_fma_f64 v[18:19], v[42:43], v[20:21], -v[18:19]
	;; [unrolled: 10-line block ×3, first 2 shown]
	v_fma_f64 v[4:5], v[64:65], v[68:69], v[34:35]
	v_fma_f64 v[6:7], v[66:67], v[68:69], -v[36:37]
	v_lshlrev_b32_e32 v32, 4, v54
	ds_write_b128 v32, v[0:3]
	ds_write_b128 v47, v[28:31] offset:64
	ds_write_b128 v47, v[8:11] offset:128
	;; [unrolled: 1-line block ×7, first 2 shown]
.LBB0_3:
	s_or_b64 exec, exec, s[14:15]
	s_waitcnt lgkmcnt(0)
	s_barrier
	s_waitcnt lgkmcnt(0)
                                        ; implicit-def: $vgpr18_vgpr19
                                        ; implicit-def: $vgpr2_vgpr3
                                        ; implicit-def: $vgpr28_vgpr29
                                        ; implicit-def: $vgpr24_vgpr25
                                        ; implicit-def: $vgpr20_vgpr21
                                        ; implicit-def: $vgpr12_vgpr13
                                        ; implicit-def: $vgpr8_vgpr9
                                        ; implicit-def: $vgpr4_vgpr5
	s_and_saveexec_b64 s[0:1], vcc
	s_cbranch_execz .LBB0_5
; %bb.4:
	v_lshlrev_b32_e32 v28, 4, v54
	ds_read_b128 v[0:3], v28
	ds_read_b128 v[4:7], v28 offset:64
	ds_read_b128 v[8:11], v28 offset:128
	;; [unrolled: 1-line block ×7, first 2 shown]
.LBB0_5:
	s_or_b64 exec, exec, s[0:1]
	s_waitcnt lgkmcnt(3)
	v_add_f64 v[20:21], v[0:1], -v[20:21]
	v_add_f64 v[22:23], v[2:3], -v[22:23]
	s_waitcnt lgkmcnt(1)
	v_add_f64 v[24:25], v[8:9], -v[24:25]
	v_add_f64 v[26:27], v[10:11], -v[26:27]
	;; [unrolled: 1-line block ×4, first 2 shown]
	s_waitcnt lgkmcnt(0)
	v_add_f64 v[28:29], v[12:13], -v[28:29]
	v_add_f64 v[30:31], v[14:15], -v[30:31]
	v_fma_f64 v[0:1], v[0:1], 2.0, -v[20:21]
	v_fma_f64 v[2:3], v[2:3], 2.0, -v[22:23]
	;; [unrolled: 1-line block ×8, first 2 shown]
	v_add_f64 v[40:41], v[20:21], -v[26:27]
	v_add_f64 v[42:43], v[22:23], v[24:25]
	v_add_f64 v[26:27], v[16:17], -v[30:31]
	v_add_f64 v[24:25], v[28:29], v[18:19]
	v_add_f64 v[8:9], v[0:1], -v[8:9]
	v_add_f64 v[10:11], v[2:3], -v[10:11]
	;; [unrolled: 1-line block ×4, first 2 shown]
	v_fma_f64 v[32:33], v[20:21], 2.0, -v[40:41]
	v_fma_f64 v[34:35], v[22:23], 2.0, -v[42:43]
	;; [unrolled: 1-line block ×4, first 2 shown]
	s_mov_b32 s0, 0x667f3bcd
	s_mov_b32 s1, 0xbfe6a09e
	;; [unrolled: 1-line block ×4, first 2 shown]
	v_fma_f64 v[0:1], v[0:1], 2.0, -v[8:9]
	v_fma_f64 v[2:3], v[2:3], 2.0, -v[10:11]
	;; [unrolled: 1-line block ×4, first 2 shown]
	v_fma_f64 v[18:19], v[20:21], s[0:1], v[32:33]
	v_fma_f64 v[22:23], v[16:17], s[0:1], v[34:35]
	;; [unrolled: 1-line block ×4, first 2 shown]
	v_lshlrev_b32_e32 v55, 4, v55
	v_add_f64 v[12:13], v[0:1], -v[4:5]
	v_add_f64 v[14:15], v[2:3], -v[6:7]
	v_fma_f64 v[16:17], v[16:17], s[0:1], v[18:19]
	v_fma_f64 v[18:19], v[20:21], s[2:3], v[22:23]
	v_add_f64 v[20:21], v[8:9], -v[30:31]
	v_add_f64 v[22:23], v[10:11], v[28:29]
	v_fma_f64 v[24:25], v[24:25], s[0:1], v[36:37]
	v_fma_f64 v[26:27], v[26:27], s[2:3], v[38:39]
	v_fma_f64 v[28:29], v[0:1], 2.0, -v[12:13]
	v_fma_f64 v[30:31], v[2:3], 2.0, -v[14:15]
	;; [unrolled: 1-line block ×8, first 2 shown]
	s_load_dwordx2 s[2:3], s[4:5], 0x8
	s_waitcnt lgkmcnt(0)
	s_barrier
	s_and_saveexec_b64 s[0:1], vcc
	s_cbranch_execz .LBB0_7
; %bb.6:
	v_lshl_or_b32 v0, v50, 7, v55
	ds_write_b128 v0, v[28:31]
	ds_write_b128 v0, v[32:35] offset:16
	ds_write_b128 v0, v[36:39] offset:32
	;; [unrolled: 1-line block ×7, first 2 shown]
.LBB0_7:
	s_or_b64 exec, exec, s[0:1]
	v_cmp_gt_u32_e64 s[0:1], 8, v50
	s_waitcnt lgkmcnt(0)
	s_barrier
	s_and_saveexec_b64 s[8:9], s[0:1]
	s_cbranch_execz .LBB0_9
; %bb.8:
	v_lshlrev_b32_e32 v0, 4, v54
	ds_read_b128 v[28:31], v0
	ds_read_b128 v[32:35], v0 offset:128
	ds_read_b128 v[36:39], v0 offset:256
	;; [unrolled: 1-line block ×3, first 2 shown]
.LBB0_9:
	s_or_b64 exec, exec, s[8:9]
	v_and_b32_e32 v0, 7, v50
	v_mad_u64_u32 v[56:57], s[2:3], v0, 48, s[2:3]
	global_load_dwordx4 v[0:3], v[56:57], off offset:32
	global_load_dwordx4 v[4:7], v[56:57], off offset:16
	global_load_dwordx4 v[8:11], v[56:57], off
	s_waitcnt vmcnt(0) lgkmcnt(2)
	v_mul_f64 v[56:57], v[34:35], v[10:11]
	v_fma_f64 v[56:57], v[32:33], v[8:9], -v[56:57]
	v_mul_f64 v[32:33], v[32:33], v[10:11]
	v_fma_f64 v[32:33], v[34:35], v[8:9], v[32:33]
	s_waitcnt lgkmcnt(1)
	v_mul_f64 v[34:35], v[38:39], v[6:7]
	v_fma_f64 v[34:35], v[36:37], v[4:5], -v[34:35]
	v_mul_f64 v[36:37], v[36:37], v[6:7]
	v_add_f64 v[34:35], v[28:29], -v[34:35]
	v_fma_f64 v[36:37], v[38:39], v[4:5], v[36:37]
	s_waitcnt lgkmcnt(0)
	v_mul_f64 v[38:39], v[42:43], v[2:3]
	v_fma_f64 v[28:29], v[28:29], 2.0, -v[34:35]
	v_add_f64 v[58:59], v[30:31], -v[36:37]
	v_fma_f64 v[38:39], v[40:41], v[0:1], -v[38:39]
	v_mul_f64 v[40:41], v[40:41], v[2:3]
	v_fma_f64 v[30:31], v[30:31], 2.0, -v[58:59]
	v_fma_f64 v[40:41], v[42:43], v[0:1], v[40:41]
	v_add_f64 v[42:43], v[56:57], -v[38:39]
	v_add_f64 v[40:41], v[32:33], -v[40:41]
	v_fma_f64 v[36:37], v[56:57], 2.0, -v[42:43]
	v_add_f64 v[42:43], v[58:59], v[42:43]
	v_fma_f64 v[32:33], v[32:33], 2.0, -v[40:41]
	v_add_f64 v[36:37], v[28:29], -v[36:37]
	v_add_f64 v[40:41], v[34:35], -v[40:41]
	;; [unrolled: 1-line block ×3, first 2 shown]
	v_fma_f64 v[28:29], v[28:29], 2.0, -v[36:37]
	v_fma_f64 v[32:33], v[34:35], 2.0, -v[40:41]
	;; [unrolled: 1-line block ×4, first 2 shown]
	s_and_saveexec_b64 s[2:3], s[0:1]
	s_cbranch_execz .LBB0_11
; %bb.10:
	v_lshlrev_b32_e32 v56, 4, v54
	ds_write_b128 v56, v[28:31]
	ds_write_b128 v56, v[32:35] offset:128
	ds_write_b128 v56, v[36:39] offset:256
	ds_write_b128 v56, v[40:43] offset:384
.LBB0_11:
	s_or_b64 exec, exec, s[2:3]
	s_waitcnt lgkmcnt(0)
	s_barrier
	s_and_saveexec_b64 s[2:3], vcc
	s_cbranch_execz .LBB0_13
; %bb.12:
	global_load_dwordx4 v[60:63], v49, s[12:13] offset:512
	v_lshlrev_b32_e32 v68, 4, v54
	ds_read_b128 v[56:59], v68
	s_add_u32 s8, s12, 0x200
	s_addc_u32 s9, s13, 0
	s_waitcnt vmcnt(0) lgkmcnt(0)
	v_mul_f64 v[64:65], v[58:59], v[62:63]
	v_fma_f64 v[64:65], v[56:57], v[60:61], -v[64:65]
	v_mul_f64 v[56:57], v[56:57], v[62:63]
	v_fma_f64 v[66:67], v[58:59], v[60:61], v[56:57]
	global_load_dwordx4 v[60:63], v49, s[8:9] offset:64
	ds_write_b128 v68, v[64:67]
	ds_read_b128 v[56:59], v47 offset:64
	s_waitcnt vmcnt(0) lgkmcnt(0)
	v_mul_f64 v[64:65], v[58:59], v[62:63]
	v_fma_f64 v[64:65], v[56:57], v[60:61], -v[64:65]
	v_mul_f64 v[56:57], v[56:57], v[62:63]
	v_fma_f64 v[66:67], v[58:59], v[60:61], v[56:57]
	global_load_dwordx4 v[60:63], v49, s[8:9] offset:128
	ds_read_b128 v[56:59], v47 offset:128
	ds_write_b128 v47, v[64:67] offset:64
	s_waitcnt vmcnt(0) lgkmcnt(1)
	v_mul_f64 v[64:65], v[58:59], v[62:63]
	v_fma_f64 v[64:65], v[56:57], v[60:61], -v[64:65]
	v_mul_f64 v[56:57], v[56:57], v[62:63]
	v_fma_f64 v[66:67], v[58:59], v[60:61], v[56:57]
	global_load_dwordx4 v[60:63], v49, s[8:9] offset:192
	ds_read_b128 v[56:59], v47 offset:192
	ds_write_b128 v47, v[64:67] offset:128
	;; [unrolled: 8-line block ×6, first 2 shown]
	s_waitcnt vmcnt(0) lgkmcnt(1)
	v_mul_f64 v[64:65], v[58:59], v[62:63]
	v_fma_f64 v[64:65], v[56:57], v[60:61], -v[64:65]
	v_mul_f64 v[56:57], v[56:57], v[62:63]
	v_fma_f64 v[66:67], v[58:59], v[60:61], v[56:57]
	ds_write_b128 v47, v[64:67] offset:448
.LBB0_13:
	s_or_b64 exec, exec, s[2:3]
	s_waitcnt lgkmcnt(0)
	s_barrier
	s_and_saveexec_b64 s[2:3], vcc
	s_cbranch_execz .LBB0_15
; %bb.14:
	v_lshlrev_b32_e32 v24, 4, v54
	ds_read_b128 v[28:31], v24
	ds_read_b128 v[32:35], v24 offset:64
	ds_read_b128 v[36:39], v24 offset:128
	;; [unrolled: 1-line block ×7, first 2 shown]
.LBB0_15:
	s_or_b64 exec, exec, s[2:3]
	s_waitcnt lgkmcnt(3)
	v_add_f64 v[12:13], v[28:29], -v[12:13]
	v_add_f64 v[14:15], v[30:31], -v[14:15]
	s_waitcnt lgkmcnt(1)
	v_add_f64 v[20:21], v[36:37], -v[20:21]
	v_add_f64 v[22:23], v[38:39], -v[22:23]
	;; [unrolled: 1-line block ×4, first 2 shown]
	s_waitcnt lgkmcnt(0)
	v_add_f64 v[24:25], v[40:41], -v[24:25]
	v_add_f64 v[26:27], v[42:43], -v[26:27]
	v_fma_f64 v[28:29], v[28:29], 2.0, -v[12:13]
	v_fma_f64 v[30:31], v[30:31], 2.0, -v[14:15]
	;; [unrolled: 1-line block ×8, first 2 shown]
	v_add_f64 v[56:57], v[12:13], v[22:23]
	v_add_f64 v[58:59], v[14:15], -v[20:21]
	v_add_f64 v[20:21], v[26:27], v[16:17]
	v_add_f64 v[22:23], v[18:19], -v[24:25]
	v_add_f64 v[24:25], v[28:29], -v[36:37]
	;; [unrolled: 1-line block ×5, first 2 shown]
	v_fma_f64 v[64:65], v[12:13], 2.0, -v[56:57]
	v_fma_f64 v[66:67], v[14:15], 2.0, -v[58:59]
	;; [unrolled: 1-line block ×4, first 2 shown]
	s_mov_b32 s2, 0x667f3bcd
	s_mov_b32 s3, 0xbfe6a09e
	;; [unrolled: 1-line block ×4, first 2 shown]
	v_fma_f64 v[16:17], v[28:29], 2.0, -v[24:25]
	v_fma_f64 v[18:19], v[30:31], 2.0, -v[26:27]
	;; [unrolled: 1-line block ×4, first 2 shown]
	v_fma_f64 v[32:33], v[12:13], s[2:3], v[64:65]
	v_fma_f64 v[34:35], v[14:15], s[2:3], v[66:67]
	;; [unrolled: 1-line block ×4, first 2 shown]
	s_barrier
	v_add_f64 v[40:41], v[16:17], -v[28:29]
	v_add_f64 v[42:43], v[18:19], -v[30:31]
	v_fma_f64 v[36:37], v[14:15], s[8:9], v[32:33]
	v_fma_f64 v[38:39], v[12:13], s[2:3], v[34:35]
	v_add_f64 v[32:33], v[24:25], v[62:63]
	v_add_f64 v[34:35], v[26:27], -v[60:61]
	v_fma_f64 v[28:29], v[22:23], s[8:9], v[68:69]
	v_fma_f64 v[30:31], v[20:21], s[2:3], v[70:71]
	v_fma_f64 v[12:13], v[16:17], 2.0, -v[40:41]
	v_fma_f64 v[14:15], v[18:19], 2.0, -v[42:43]
	;; [unrolled: 1-line block ×8, first 2 shown]
	s_and_saveexec_b64 s[2:3], vcc
	s_cbranch_execz .LBB0_17
; %bb.16:
	v_lshl_or_b32 v55, v50, 7, v55
	ds_write_b128 v55, v[12:15]
	ds_write_b128 v55, v[16:19] offset:16
	ds_write_b128 v55, v[20:23] offset:32
	;; [unrolled: 1-line block ×7, first 2 shown]
.LBB0_17:
	s_or_b64 exec, exec, s[2:3]
	s_waitcnt lgkmcnt(0)
	s_barrier
	s_and_saveexec_b64 s[2:3], s[0:1]
	s_cbranch_execz .LBB0_19
; %bb.18:
	v_lshlrev_b32_e32 v24, 4, v54
	ds_read_b128 v[12:15], v24
	ds_read_b128 v[16:19], v24 offset:128
	ds_read_b128 v[20:23], v24 offset:256
	;; [unrolled: 1-line block ×3, first 2 shown]
.LBB0_19:
	s_or_b64 exec, exec, s[2:3]
	s_and_saveexec_b64 s[2:3], s[0:1]
	s_cbranch_execz .LBB0_21
; %bb.20:
	s_waitcnt lgkmcnt(1)
	v_mul_f64 v[28:29], v[6:7], v[20:21]
	v_mul_f64 v[30:31], v[10:11], v[18:19]
	;; [unrolled: 1-line block ×3, first 2 shown]
	s_waitcnt lgkmcnt(0)
	v_mul_f64 v[32:33], v[2:3], v[24:25]
	v_mul_f64 v[6:7], v[6:7], v[22:23]
	;; [unrolled: 1-line block ×3, first 2 shown]
	v_fma_f64 v[22:23], v[4:5], v[22:23], -v[28:29]
	v_fma_f64 v[16:17], v[8:9], v[16:17], v[30:31]
	v_fma_f64 v[8:9], v[8:9], v[18:19], -v[10:11]
	v_fma_f64 v[10:11], v[0:1], v[26:27], -v[32:33]
	v_fma_f64 v[4:5], v[4:5], v[20:21], v[6:7]
	v_fma_f64 v[0:1], v[0:1], v[24:25], v[2:3]
	v_add_f64 v[18:19], v[14:15], -v[22:23]
	v_add_f64 v[6:7], v[8:9], -v[10:11]
	;; [unrolled: 1-line block ×4, first 2 shown]
	v_fma_f64 v[14:15], v[14:15], 2.0, -v[18:19]
	v_fma_f64 v[4:5], v[8:9], 2.0, -v[6:7]
	;; [unrolled: 1-line block ×4, first 2 shown]
	v_add_f64 v[2:3], v[18:19], -v[0:1]
	v_add_f64 v[0:1], v[20:21], v[6:7]
	v_lshlrev_b32_e32 v16, 4, v54
	v_add_f64 v[6:7], v[14:15], -v[4:5]
	v_add_f64 v[4:5], v[12:13], -v[8:9]
	v_fma_f64 v[10:11], v[18:19], 2.0, -v[2:3]
	v_fma_f64 v[8:9], v[20:21], 2.0, -v[0:1]
	;; [unrolled: 1-line block ×4, first 2 shown]
	ds_write_b128 v16, v[8:11] offset:128
	ds_write_b128 v16, v[4:7] offset:256
	ds_write_b128 v16, v[12:15]
	ds_write_b128 v16, v[0:3] offset:384
.LBB0_21:
	s_or_b64 exec, exec, s[2:3]
	s_waitcnt lgkmcnt(0)
	s_barrier
	s_and_b64 exec, exec, vcc
	s_cbranch_execz .LBB0_23
; %bb.22:
	global_load_dwordx4 v[0:3], v49, s[12:13]
	global_load_dwordx4 v[4:7], v49, s[12:13] offset:64
	global_load_dwordx4 v[8:11], v49, s[12:13] offset:128
	;; [unrolled: 1-line block ×5, first 2 shown]
	s_load_dwordx2 s[0:1], s[4:5], 0x20
	ds_read_b128 v[24:27], v47 offset:64
	ds_read_b128 v[28:31], v47 offset:128
	v_lshlrev_b32_e32 v78, 4, v54
	v_mov_b32_e32 v79, s7
	s_waitcnt lgkmcnt(0)
	s_load_dwordx4 s[0:3], s[0:1], 0x0
	ds_read_b128 v[32:35], v47 offset:192
	ds_read_b128 v[36:39], v47 offset:256
	;; [unrolled: 1-line block ×4, first 2 shown]
	s_waitcnt lgkmcnt(0)
	v_mad_u64_u32 v[66:67], s[4:5], s2, v44, 0
	v_mad_u64_u32 v[68:69], s[4:5], s0, v50, 0
	;; [unrolled: 1-line block ×4, first 2 shown]
	v_mov_b32_e32 v58, v67
	v_mov_b32_e32 v59, v69
	v_mad_u64_u32 v[74:75], s[4:5], s0, v53, 0
	v_mad_u64_u32 v[62:63], s[2:3], s3, v44, v[58:59]
	v_mov_b32_e32 v60, v71
	v_mov_b32_e32 v61, v73
	;; [unrolled: 1-line block ×3, first 2 shown]
	v_mad_u64_u32 v[63:64], s[2:3], s1, v50, v[59:60]
	v_mad_u64_u32 v[75:76], s[2:3], s1, v52, v[61:62]
	;; [unrolled: 1-line block ×4, first 2 shown]
	global_load_dwordx4 v[50:53], v49, s[12:13] offset:384
	global_load_dwordx4 v[58:61], v49, s[12:13] offset:448
	v_mov_b32_e32 v67, v62
	v_mov_b32_e32 v69, v63
	v_mov_b32_e32 v71, v64
	ds_read_b128 v[62:65], v78
	v_mov_b32_e32 v73, v75
	v_mov_b32_e32 v75, v76
	v_lshlrev_b64 v[66:67], 4, v[66:67]
	v_lshlrev_b64 v[68:69], 4, v[68:69]
	v_add_co_u32_e32 v44, vcc, s6, v66
	v_addc_co_u32_e32 v49, vcc, v79, v67, vcc
	v_lshlrev_b64 v[70:71], 4, v[70:71]
	v_add_co_u32_e32 v66, vcc, v44, v68
	v_addc_co_u32_e32 v67, vcc, v49, v69, vcc
	v_lshlrev_b64 v[72:73], 4, v[72:73]
	v_lshlrev_b64 v[74:75], 4, v[74:75]
	s_lshl_b64 s[2:3], s[0:1], 8
	s_waitcnt vmcnt(7) lgkmcnt(0)
	v_mul_f64 v[76:77], v[64:65], v[2:3]
	v_mul_f64 v[2:3], v[62:63], v[2:3]
	s_waitcnt vmcnt(6)
	v_mul_f64 v[68:69], v[26:27], v[6:7]
	v_fma_f64 v[62:63], v[62:63], v[0:1], v[76:77]
	v_fma_f64 v[2:3], v[0:1], v[64:65], -v[2:3]
	v_mul_f64 v[0:1], v[24:25], v[6:7]
	v_add_co_u32_e32 v64, vcc, v44, v70
	v_addc_co_u32_e32 v65, vcc, v49, v71, vcc
	s_waitcnt vmcnt(5)
	v_mul_f64 v[6:7], v[30:31], v[10:11]
	v_mul_f64 v[10:11], v[28:29], v[10:11]
	s_waitcnt vmcnt(4)
	v_mul_f64 v[70:71], v[34:35], v[14:15]
	v_fma_f64 v[26:27], v[4:5], v[26:27], -v[0:1]
	v_mul_f64 v[0:1], v[32:33], v[14:15]
	v_fma_f64 v[24:25], v[24:25], v[4:5], v[68:69]
	s_waitcnt vmcnt(3)
	v_mul_f64 v[14:15], v[38:39], v[18:19]
	v_mul_f64 v[18:19], v[36:37], v[18:19]
	v_fma_f64 v[28:29], v[28:29], v[8:9], v[6:7]
	v_fma_f64 v[10:11], v[8:9], v[30:31], -v[10:11]
	v_fma_f64 v[30:31], v[32:33], v[12:13], v[70:71]
	v_ldexp_f64 v[2:3], v[2:3], -5
	v_fma_f64 v[32:33], v[12:13], v[34:35], -v[0:1]
	v_ldexp_f64 v[0:1], v[62:63], -5
	v_add_co_u32_e32 v68, vcc, v44, v72
	v_ldexp_f64 v[4:5], v[24:25], -5
	v_ldexp_f64 v[6:7], v[26:27], -5
	v_addc_co_u32_e32 v69, vcc, v49, v73, vcc
	s_waitcnt vmcnt(2)
	v_mul_f64 v[72:73], v[42:43], v[22:23]
	v_ldexp_f64 v[8:9], v[28:29], -5
	v_ldexp_f64 v[10:11], v[10:11], -5
	v_mul_f64 v[22:23], v[40:41], v[22:23]
	v_fma_f64 v[24:25], v[36:37], v[16:17], v[14:15]
	v_fma_f64 v[16:17], v[16:17], v[38:39], -v[18:19]
	v_ldexp_f64 v[12:13], v[30:31], -5
	v_ldexp_f64 v[14:15], v[32:33], -5
	global_store_dwordx4 v[66:67], v[0:3], off
	global_store_dwordx4 v[64:65], v[4:7], off
	;; [unrolled: 1-line block ×3, first 2 shown]
	v_add_co_u32_e32 v0, vcc, v44, v74
	v_addc_co_u32_e32 v1, vcc, v49, v75, vcc
	v_ldexp_f64 v[2:3], v[16:17], -5
	v_fma_f64 v[4:5], v[40:41], v[20:21], v[72:73]
	global_store_dwordx4 v[0:1], v[12:15], off
	v_ldexp_f64 v[0:1], v[24:25], -5
	v_fma_f64 v[6:7], v[20:21], v[42:43], -v[22:23]
	v_mad_u64_u32 v[8:9], s[4:5], s0, v48, 0
	v_add_co_u32_e32 v10, vcc, s2, v66
	v_mov_b32_e32 v11, s3
	v_mad_u64_u32 v[12:13], s[2:3], s1, v48, v[9:10]
	v_addc_co_u32_e32 v11, vcc, v67, v11, vcc
	global_store_dwordx4 v[10:11], v[0:3], off
	v_mov_b32_e32 v9, v12
	v_ldexp_f64 v[0:1], v[4:5], -5
	v_ldexp_f64 v[2:3], v[6:7], -5
	ds_read_b128 v[4:7], v47 offset:448
	s_waitcnt vmcnt(6)
	v_mul_f64 v[10:11], v[56:57], v[52:53]
	v_mul_f64 v[12:13], v[54:55], v[52:53]
	v_mad_u64_u32 v[14:15], s[2:3], s0, v46, 0
	s_waitcnt vmcnt(5) lgkmcnt(0)
	v_mul_f64 v[16:17], v[6:7], v[60:61]
	v_mul_f64 v[18:19], v[4:5], v[60:61]
	v_lshlrev_b64 v[8:9], 4, v[8:9]
	v_fma_f64 v[10:11], v[54:55], v[50:51], v[10:11]
	v_fma_f64 v[12:13], v[50:51], v[56:57], -v[12:13]
	v_add_co_u32_e32 v8, vcc, v44, v8
	v_fma_f64 v[4:5], v[4:5], v[58:59], v[16:17]
	v_fma_f64 v[6:7], v[58:59], v[6:7], -v[18:19]
	v_addc_co_u32_e32 v9, vcc, v49, v9, vcc
	v_mad_u64_u32 v[20:21], s[2:3], s1, v46, v[15:16]
	global_store_dwordx4 v[8:9], v[0:3], off
	v_mov_b32_e32 v15, v20
	v_ldexp_f64 v[0:1], v[10:11], -5
	v_ldexp_f64 v[2:3], v[12:13], -5
	v_mad_u64_u32 v[10:11], s[2:3], s0, v45, 0
	v_lshlrev_b64 v[8:9], 4, v[14:15]
	v_ldexp_f64 v[4:5], v[4:5], -5
	v_mad_u64_u32 v[11:12], s[0:1], s1, v45, v[11:12]
	v_ldexp_f64 v[6:7], v[6:7], -5
	v_add_co_u32_e32 v8, vcc, v44, v8
	v_addc_co_u32_e32 v9, vcc, v49, v9, vcc
	global_store_dwordx4 v[8:9], v[0:3], off
	s_nop 0
	v_lshlrev_b64 v[0:1], 4, v[10:11]
	v_add_co_u32_e32 v0, vcc, v44, v0
	v_addc_co_u32_e32 v1, vcc, v49, v1, vcc
	global_store_dwordx4 v[0:1], v[4:7], off
.LBB0_23:
	s_endpgm
	.section	.rodata,"a",@progbits
	.p2align	6, 0x0
	.amdhsa_kernel bluestein_single_fwd_len32_dim1_dp_op_CI_CI
		.amdhsa_group_segment_fixed_size 4096
		.amdhsa_private_segment_fixed_size 0
		.amdhsa_kernarg_size 104
		.amdhsa_user_sgpr_count 6
		.amdhsa_user_sgpr_private_segment_buffer 1
		.amdhsa_user_sgpr_dispatch_ptr 0
		.amdhsa_user_sgpr_queue_ptr 0
		.amdhsa_user_sgpr_kernarg_segment_ptr 1
		.amdhsa_user_sgpr_dispatch_id 0
		.amdhsa_user_sgpr_flat_scratch_init 0
		.amdhsa_user_sgpr_private_segment_size 0
		.amdhsa_uses_dynamic_stack 0
		.amdhsa_system_sgpr_private_segment_wavefront_offset 0
		.amdhsa_system_sgpr_workgroup_id_x 1
		.amdhsa_system_sgpr_workgroup_id_y 0
		.amdhsa_system_sgpr_workgroup_id_z 0
		.amdhsa_system_sgpr_workgroup_info 0
		.amdhsa_system_vgpr_workitem_id 0
		.amdhsa_next_free_vgpr 80
		.amdhsa_next_free_sgpr 16
		.amdhsa_reserve_vcc 1
		.amdhsa_reserve_flat_scratch 0
		.amdhsa_float_round_mode_32 0
		.amdhsa_float_round_mode_16_64 0
		.amdhsa_float_denorm_mode_32 3
		.amdhsa_float_denorm_mode_16_64 3
		.amdhsa_dx10_clamp 1
		.amdhsa_ieee_mode 1
		.amdhsa_fp16_overflow 0
		.amdhsa_exception_fp_ieee_invalid_op 0
		.amdhsa_exception_fp_denorm_src 0
		.amdhsa_exception_fp_ieee_div_zero 0
		.amdhsa_exception_fp_ieee_overflow 0
		.amdhsa_exception_fp_ieee_underflow 0
		.amdhsa_exception_fp_ieee_inexact 0
		.amdhsa_exception_int_div_zero 0
	.end_amdhsa_kernel
	.text
.Lfunc_end0:
	.size	bluestein_single_fwd_len32_dim1_dp_op_CI_CI, .Lfunc_end0-bluestein_single_fwd_len32_dim1_dp_op_CI_CI
                                        ; -- End function
	.section	.AMDGPU.csdata,"",@progbits
; Kernel info:
; codeLenInByte = 4512
; NumSgprs: 20
; NumVgprs: 80
; ScratchSize: 0
; MemoryBound: 0
; FloatMode: 240
; IeeeMode: 1
; LDSByteSize: 4096 bytes/workgroup (compile time only)
; SGPRBlocks: 2
; VGPRBlocks: 19
; NumSGPRsForWavesPerEU: 20
; NumVGPRsForWavesPerEU: 80
; Occupancy: 3
; WaveLimiterHint : 1
; COMPUTE_PGM_RSRC2:SCRATCH_EN: 0
; COMPUTE_PGM_RSRC2:USER_SGPR: 6
; COMPUTE_PGM_RSRC2:TRAP_HANDLER: 0
; COMPUTE_PGM_RSRC2:TGID_X_EN: 1
; COMPUTE_PGM_RSRC2:TGID_Y_EN: 0
; COMPUTE_PGM_RSRC2:TGID_Z_EN: 0
; COMPUTE_PGM_RSRC2:TIDIG_COMP_CNT: 0
	.type	__hip_cuid_4313e7723d6c3af4,@object ; @__hip_cuid_4313e7723d6c3af4
	.section	.bss,"aw",@nobits
	.globl	__hip_cuid_4313e7723d6c3af4
__hip_cuid_4313e7723d6c3af4:
	.byte	0                               ; 0x0
	.size	__hip_cuid_4313e7723d6c3af4, 1

	.ident	"AMD clang version 19.0.0git (https://github.com/RadeonOpenCompute/llvm-project roc-6.4.0 25133 c7fe45cf4b819c5991fe208aaa96edf142730f1d)"
	.section	".note.GNU-stack","",@progbits
	.addrsig
	.addrsig_sym __hip_cuid_4313e7723d6c3af4
	.amdgpu_metadata
---
amdhsa.kernels:
  - .args:
      - .actual_access:  read_only
        .address_space:  global
        .offset:         0
        .size:           8
        .value_kind:     global_buffer
      - .actual_access:  read_only
        .address_space:  global
        .offset:         8
        .size:           8
        .value_kind:     global_buffer
      - .actual_access:  read_only
        .address_space:  global
        .offset:         16
        .size:           8
        .value_kind:     global_buffer
      - .actual_access:  read_only
        .address_space:  global
        .offset:         24
        .size:           8
        .value_kind:     global_buffer
      - .actual_access:  read_only
        .address_space:  global
        .offset:         32
        .size:           8
        .value_kind:     global_buffer
      - .offset:         40
        .size:           8
        .value_kind:     by_value
      - .address_space:  global
        .offset:         48
        .size:           8
        .value_kind:     global_buffer
      - .address_space:  global
        .offset:         56
        .size:           8
        .value_kind:     global_buffer
      - .address_space:  global
        .offset:         64
        .size:           8
        .value_kind:     global_buffer
      - .address_space:  global
        .offset:         72
        .size:           8
        .value_kind:     global_buffer
      - .offset:         80
        .size:           4
        .value_kind:     by_value
      - .address_space:  global
        .offset:         88
        .size:           8
        .value_kind:     global_buffer
      - .address_space:  global
        .offset:         96
        .size:           8
        .value_kind:     global_buffer
    .group_segment_fixed_size: 4096
    .kernarg_segment_align: 8
    .kernarg_segment_size: 104
    .language:       OpenCL C
    .language_version:
      - 2
      - 0
    .max_flat_workgroup_size: 128
    .name:           bluestein_single_fwd_len32_dim1_dp_op_CI_CI
    .private_segment_fixed_size: 0
    .sgpr_count:     20
    .sgpr_spill_count: 0
    .symbol:         bluestein_single_fwd_len32_dim1_dp_op_CI_CI.kd
    .uniform_work_group_size: 1
    .uses_dynamic_stack: false
    .vgpr_count:     80
    .vgpr_spill_count: 0
    .wavefront_size: 64
amdhsa.target:   amdgcn-amd-amdhsa--gfx906
amdhsa.version:
  - 1
  - 2
...

	.end_amdgpu_metadata
